;; amdgpu-corpus repo=ROCm/rocFFT kind=compiled arch=gfx1030 opt=O3
	.text
	.amdgcn_target "amdgcn-amd-amdhsa--gfx1030"
	.amdhsa_code_object_version 6
	.protected	fft_rtc_fwd_len891_factors_9_11_3_3_wgs_198_tpt_99_halfLds_dp_ip_CI_sbrr_dirReg ; -- Begin function fft_rtc_fwd_len891_factors_9_11_3_3_wgs_198_tpt_99_halfLds_dp_ip_CI_sbrr_dirReg
	.globl	fft_rtc_fwd_len891_factors_9_11_3_3_wgs_198_tpt_99_halfLds_dp_ip_CI_sbrr_dirReg
	.p2align	8
	.type	fft_rtc_fwd_len891_factors_9_11_3_3_wgs_198_tpt_99_halfLds_dp_ip_CI_sbrr_dirReg,@function
fft_rtc_fwd_len891_factors_9_11_3_3_wgs_198_tpt_99_halfLds_dp_ip_CI_sbrr_dirReg: ; @fft_rtc_fwd_len891_factors_9_11_3_3_wgs_198_tpt_99_halfLds_dp_ip_CI_sbrr_dirReg
; %bb.0:
	s_clause 0x2
	s_load_dwordx2 s[14:15], s[4:5], 0x18
	s_load_dwordx4 s[8:11], s[4:5], 0x0
	s_load_dwordx2 s[12:13], s[4:5], 0x50
	v_mul_u32_u24_e32 v1, 0x296, v0
	v_mov_b32_e32 v3, 0
	v_lshrrev_b32_e32 v28, 16, v1
	v_mov_b32_e32 v1, 0
	v_mov_b32_e32 v6, v3
	v_mov_b32_e32 v2, 0
	v_lshl_add_u32 v5, s6, 1, v28
	s_waitcnt lgkmcnt(0)
	s_load_dwordx2 s[2:3], s[14:15], 0x0
	v_cmp_lt_u64_e64 s0, s[10:11], 2
	s_and_b32 vcc_lo, exec_lo, s0
	s_cbranch_vccnz .LBB0_8
; %bb.1:
	s_load_dwordx2 s[0:1], s[4:5], 0x10
	v_mov_b32_e32 v1, 0
	s_add_u32 s6, s14, 8
	v_mov_b32_e32 v2, 0
	s_addc_u32 s7, s15, 0
	s_mov_b64 s[18:19], 1
	s_waitcnt lgkmcnt(0)
	s_add_u32 s16, s0, 8
	s_addc_u32 s17, s1, 0
.LBB0_2:                                ; =>This Inner Loop Header: Depth=1
	s_load_dwordx2 s[20:21], s[16:17], 0x0
                                        ; implicit-def: $vgpr7_vgpr8
	s_mov_b32 s0, exec_lo
	s_waitcnt lgkmcnt(0)
	v_or_b32_e32 v4, s21, v6
	v_cmpx_ne_u64_e32 0, v[3:4]
	s_xor_b32 s1, exec_lo, s0
	s_cbranch_execz .LBB0_4
; %bb.3:                                ;   in Loop: Header=BB0_2 Depth=1
	v_cvt_f32_u32_e32 v4, s20
	v_cvt_f32_u32_e32 v7, s21
	s_sub_u32 s0, 0, s20
	s_subb_u32 s22, 0, s21
	v_fmac_f32_e32 v4, 0x4f800000, v7
	v_rcp_f32_e32 v4, v4
	v_mul_f32_e32 v4, 0x5f7ffffc, v4
	v_mul_f32_e32 v7, 0x2f800000, v4
	v_trunc_f32_e32 v7, v7
	v_fmac_f32_e32 v4, 0xcf800000, v7
	v_cvt_u32_f32_e32 v7, v7
	v_cvt_u32_f32_e32 v4, v4
	v_mul_lo_u32 v8, s0, v7
	v_mul_hi_u32 v9, s0, v4
	v_mul_lo_u32 v10, s22, v4
	v_add_nc_u32_e32 v8, v9, v8
	v_mul_lo_u32 v9, s0, v4
	v_add_nc_u32_e32 v8, v8, v10
	v_mul_hi_u32 v10, v4, v9
	v_mul_lo_u32 v11, v4, v8
	v_mul_hi_u32 v12, v4, v8
	v_mul_hi_u32 v13, v7, v9
	v_mul_lo_u32 v9, v7, v9
	v_mul_hi_u32 v14, v7, v8
	v_mul_lo_u32 v8, v7, v8
	v_add_co_u32 v10, vcc_lo, v10, v11
	v_add_co_ci_u32_e32 v11, vcc_lo, 0, v12, vcc_lo
	v_add_co_u32 v9, vcc_lo, v10, v9
	v_add_co_ci_u32_e32 v9, vcc_lo, v11, v13, vcc_lo
	v_add_co_ci_u32_e32 v10, vcc_lo, 0, v14, vcc_lo
	v_add_co_u32 v8, vcc_lo, v9, v8
	v_add_co_ci_u32_e32 v9, vcc_lo, 0, v10, vcc_lo
	v_add_co_u32 v4, vcc_lo, v4, v8
	v_add_co_ci_u32_e32 v7, vcc_lo, v7, v9, vcc_lo
	v_mul_hi_u32 v8, s0, v4
	v_mul_lo_u32 v10, s22, v4
	v_mul_lo_u32 v9, s0, v7
	v_add_nc_u32_e32 v8, v8, v9
	v_mul_lo_u32 v9, s0, v4
	v_add_nc_u32_e32 v8, v8, v10
	v_mul_hi_u32 v10, v4, v9
	v_mul_lo_u32 v11, v4, v8
	v_mul_hi_u32 v12, v4, v8
	v_mul_hi_u32 v13, v7, v9
	v_mul_lo_u32 v9, v7, v9
	v_mul_hi_u32 v14, v7, v8
	v_mul_lo_u32 v8, v7, v8
	v_add_co_u32 v10, vcc_lo, v10, v11
	v_add_co_ci_u32_e32 v11, vcc_lo, 0, v12, vcc_lo
	v_add_co_u32 v9, vcc_lo, v10, v9
	v_add_co_ci_u32_e32 v9, vcc_lo, v11, v13, vcc_lo
	v_add_co_ci_u32_e32 v10, vcc_lo, 0, v14, vcc_lo
	v_add_co_u32 v8, vcc_lo, v9, v8
	v_add_co_ci_u32_e32 v9, vcc_lo, 0, v10, vcc_lo
	v_add_co_u32 v4, vcc_lo, v4, v8
	v_add_co_ci_u32_e32 v11, vcc_lo, v7, v9, vcc_lo
	v_mul_hi_u32 v13, v5, v4
	v_mad_u64_u32 v[9:10], null, v6, v4, 0
	v_mad_u64_u32 v[7:8], null, v5, v11, 0
	;; [unrolled: 1-line block ×3, first 2 shown]
	v_add_co_u32 v4, vcc_lo, v13, v7
	v_add_co_ci_u32_e32 v7, vcc_lo, 0, v8, vcc_lo
	v_add_co_u32 v4, vcc_lo, v4, v9
	v_add_co_ci_u32_e32 v4, vcc_lo, v7, v10, vcc_lo
	v_add_co_ci_u32_e32 v7, vcc_lo, 0, v12, vcc_lo
	v_add_co_u32 v4, vcc_lo, v4, v11
	v_add_co_ci_u32_e32 v9, vcc_lo, 0, v7, vcc_lo
	v_mul_lo_u32 v10, s21, v4
	v_mad_u64_u32 v[7:8], null, s20, v4, 0
	v_mul_lo_u32 v11, s20, v9
	v_sub_co_u32 v7, vcc_lo, v5, v7
	v_add3_u32 v8, v8, v11, v10
	v_sub_nc_u32_e32 v10, v6, v8
	v_subrev_co_ci_u32_e64 v10, s0, s21, v10, vcc_lo
	v_add_co_u32 v11, s0, v4, 2
	v_add_co_ci_u32_e64 v12, s0, 0, v9, s0
	v_sub_co_u32 v13, s0, v7, s20
	v_sub_co_ci_u32_e32 v8, vcc_lo, v6, v8, vcc_lo
	v_subrev_co_ci_u32_e64 v10, s0, 0, v10, s0
	v_cmp_le_u32_e32 vcc_lo, s20, v13
	v_cmp_eq_u32_e64 s0, s21, v8
	v_cndmask_b32_e64 v13, 0, -1, vcc_lo
	v_cmp_le_u32_e32 vcc_lo, s21, v10
	v_cndmask_b32_e64 v14, 0, -1, vcc_lo
	v_cmp_le_u32_e32 vcc_lo, s20, v7
	;; [unrolled: 2-line block ×3, first 2 shown]
	v_cndmask_b32_e64 v15, 0, -1, vcc_lo
	v_cmp_eq_u32_e32 vcc_lo, s21, v10
	v_cndmask_b32_e64 v7, v15, v7, s0
	v_cndmask_b32_e32 v10, v14, v13, vcc_lo
	v_add_co_u32 v13, vcc_lo, v4, 1
	v_add_co_ci_u32_e32 v14, vcc_lo, 0, v9, vcc_lo
	v_cmp_ne_u32_e32 vcc_lo, 0, v10
	v_cndmask_b32_e32 v8, v14, v12, vcc_lo
	v_cndmask_b32_e32 v10, v13, v11, vcc_lo
	v_cmp_ne_u32_e32 vcc_lo, 0, v7
	v_cndmask_b32_e32 v8, v9, v8, vcc_lo
	v_cndmask_b32_e32 v7, v4, v10, vcc_lo
.LBB0_4:                                ;   in Loop: Header=BB0_2 Depth=1
	s_andn2_saveexec_b32 s0, s1
	s_cbranch_execz .LBB0_6
; %bb.5:                                ;   in Loop: Header=BB0_2 Depth=1
	v_cvt_f32_u32_e32 v4, s20
	s_sub_i32 s1, 0, s20
	v_rcp_iflag_f32_e32 v4, v4
	v_mul_f32_e32 v4, 0x4f7ffffe, v4
	v_cvt_u32_f32_e32 v4, v4
	v_mul_lo_u32 v7, s1, v4
	v_mul_hi_u32 v7, v4, v7
	v_add_nc_u32_e32 v4, v4, v7
	v_mul_hi_u32 v4, v5, v4
	v_mul_lo_u32 v7, v4, s20
	v_add_nc_u32_e32 v8, 1, v4
	v_sub_nc_u32_e32 v7, v5, v7
	v_subrev_nc_u32_e32 v9, s20, v7
	v_cmp_le_u32_e32 vcc_lo, s20, v7
	v_cndmask_b32_e32 v7, v7, v9, vcc_lo
	v_cndmask_b32_e32 v4, v4, v8, vcc_lo
	v_cmp_le_u32_e32 vcc_lo, s20, v7
	v_add_nc_u32_e32 v8, 1, v4
	v_cndmask_b32_e32 v7, v4, v8, vcc_lo
	v_mov_b32_e32 v8, v3
.LBB0_6:                                ;   in Loop: Header=BB0_2 Depth=1
	s_or_b32 exec_lo, exec_lo, s0
	s_load_dwordx2 s[0:1], s[6:7], 0x0
	v_mul_lo_u32 v4, v8, s20
	v_mul_lo_u32 v11, v7, s21
	v_mad_u64_u32 v[9:10], null, v7, s20, 0
	s_add_u32 s18, s18, 1
	s_addc_u32 s19, s19, 0
	s_add_u32 s6, s6, 8
	s_addc_u32 s7, s7, 0
	s_add_u32 s16, s16, 8
	s_addc_u32 s17, s17, 0
	v_add3_u32 v4, v10, v11, v4
	v_sub_co_u32 v5, vcc_lo, v5, v9
	v_sub_co_ci_u32_e32 v4, vcc_lo, v6, v4, vcc_lo
	s_waitcnt lgkmcnt(0)
	v_mul_lo_u32 v6, s1, v5
	v_mul_lo_u32 v4, s0, v4
	v_mad_u64_u32 v[1:2], null, s0, v5, v[1:2]
	v_cmp_ge_u64_e64 s0, s[18:19], s[10:11]
	s_and_b32 vcc_lo, exec_lo, s0
	v_add3_u32 v2, v6, v2, v4
	s_cbranch_vccnz .LBB0_9
; %bb.7:                                ;   in Loop: Header=BB0_2 Depth=1
	v_mov_b32_e32 v5, v7
	v_mov_b32_e32 v6, v8
	s_branch .LBB0_2
.LBB0_8:
	v_mov_b32_e32 v8, v6
	v_mov_b32_e32 v7, v5
.LBB0_9:
	s_lshl_b64 s[0:1], s[10:11], 3
	s_load_dwordx2 s[4:5], s[4:5], 0x20
	s_add_u32 s0, s14, s0
	s_addc_u32 s1, s15, s1
	v_mul_hi_u32 v3, 0x295fad5, v0
	s_load_dwordx2 s[0:1], s[0:1], 0x0
                                        ; implicit-def: $vgpr42_vgpr43
                                        ; implicit-def: $vgpr38_vgpr39
                                        ; implicit-def: $vgpr26_vgpr27
                                        ; implicit-def: $vgpr14_vgpr15
                                        ; implicit-def: $vgpr22_vgpr23
                                        ; implicit-def: $vgpr18_vgpr19
                                        ; implicit-def: $vgpr34_vgpr35
	v_mul_u32_u24_e32 v3, 0x63, v3
	v_sub_nc_u32_e32 v67, v0, v3
	s_waitcnt lgkmcnt(0)
	v_cmp_gt_u64_e32 vcc_lo, s[4:5], v[7:8]
	v_add_nc_u32_e32 v66, 0x63, v67
	v_add_nc_u32_e32 v68, 0xc6, v67
	;; [unrolled: 1-line block ×3, first 2 shown]
	v_mul_lo_u32 v4, s0, v8
	v_mul_lo_u32 v5, s1, v7
	v_mad_u64_u32 v[1:2], null, s0, v7, v[1:2]
	v_add_nc_u32_e32 v69, 0x18c, v67
	v_add_nc_u32_e32 v72, 0x252, v67
	;; [unrolled: 1-line block ×3, first 2 shown]
                                        ; implicit-def: $vgpr6_vgpr7
	v_add3_u32 v2, v5, v2, v4
	v_lshlrev_b64 v[44:45], 4, v[1:2]
                                        ; implicit-def: $vgpr2_vgpr3
	s_and_saveexec_b32 s1, vcc_lo
	s_cbranch_execz .LBB0_11
; %bb.10:
	v_mad_u64_u32 v[0:1], null, s2, v67, 0
	v_mad_u64_u32 v[2:3], null, s2, v66, 0
	;; [unrolled: 1-line block ×6, first 2 shown]
	v_mov_b32_e32 v1, v3
	v_add_co_u32 v31, s0, s12, v44
	v_add_co_ci_u32_e64 v36, s0, s13, v45, s0
	v_mad_u64_u32 v[5:6], null, s3, v66, v[1:2]
	v_mov_b32_e32 v1, v4
	v_mov_b32_e32 v4, v9
	v_mov_b32_e32 v6, v11
	v_add_nc_u32_e32 v17, 0x1ef, v67
	v_mad_u64_u32 v[20:21], null, s2, v72, 0
	v_mov_b32_e32 v3, v5
	v_mad_u64_u32 v[4:5], null, s3, v68, v[4:5]
	v_mad_u64_u32 v[5:6], null, s3, v70, v[6:7]
	v_lshlrev_b64 v[0:1], 4, v[0:1]
	v_lshlrev_b64 v[2:3], 4, v[2:3]
	v_mad_u64_u32 v[13:14], null, s3, v69, v[13:14]
	v_mov_b32_e32 v9, v4
	v_mad_u64_u32 v[14:15], null, s2, v17, 0
	v_mov_b32_e32 v11, v5
	v_add_co_u32 v0, s0, v31, v0
	v_lshlrev_b64 v[8:9], 4, v[8:9]
	v_add_co_ci_u32_e64 v1, s0, v36, v1, s0
	v_add_co_u32 v6, s0, v31, v2
	v_lshlrev_b64 v[10:11], 4, v[10:11]
	v_add_co_ci_u32_e64 v7, s0, v36, v3, s0
	v_add_co_u32 v8, s0, v31, v8
	v_mov_b32_e32 v16, v21
	v_add_co_ci_u32_e64 v9, s0, v36, v9, s0
	v_mad_u64_u32 v[22:23], null, s2, v71, 0
	v_add_nc_u32_e32 v29, 0x318, v67
	v_add_co_u32 v10, s0, v31, v10
	v_add_co_ci_u32_e64 v11, s0, v36, v11, s0
	v_mad_u64_u32 v[24:25], null, s3, v17, v[15:16]
	v_mad_u64_u32 v[25:26], null, s3, v72, v[16:17]
	;; [unrolled: 1-line block ×3, first 2 shown]
	s_clause 0x3
	global_load_dwordx4 v[0:3], v[0:1], off
	global_load_dwordx4 v[4:7], v[6:7], off
	global_load_dwordx4 v[32:35], v[8:9], off
	global_load_dwordx4 v[16:19], v[10:11], off
	v_lshlrev_b64 v[9:10], 4, v[12:13]
	v_mov_b32_e32 v8, v23
	v_mov_b32_e32 v15, v24
	;; [unrolled: 1-line block ×3, first 2 shown]
	v_mad_u64_u32 v[11:12], null, s3, v71, v[8:9]
	v_mov_b32_e32 v8, v27
	v_add_co_u32 v9, s0, v31, v9
	v_lshlrev_b64 v[12:13], 4, v[14:15]
	v_lshlrev_b64 v[20:21], 4, v[20:21]
	v_add_co_ci_u32_e64 v10, s0, v36, v10, s0
	v_mad_u64_u32 v[14:15], null, s3, v29, v[8:9]
	v_mov_b32_e32 v23, v11
	v_add_co_u32 v11, s0, v31, v12
	v_add_co_ci_u32_e64 v12, s0, v36, v13, s0
	v_lshlrev_b64 v[22:23], 4, v[22:23]
	v_mov_b32_e32 v27, v14
	v_add_co_u32 v24, s0, v31, v20
	v_add_co_ci_u32_e64 v25, s0, v36, v21, s0
	v_lshlrev_b64 v[13:14], 4, v[26:27]
	v_add_co_u32 v29, s0, v31, v22
	v_add_co_ci_u32_e64 v30, s0, v36, v23, s0
	v_add_co_u32 v40, s0, v31, v13
	v_add_co_ci_u32_e64 v41, s0, v36, v14, s0
	s_clause 0x4
	global_load_dwordx4 v[20:23], v[9:10], off
	global_load_dwordx4 v[12:15], v[11:12], off
	;; [unrolled: 1-line block ×5, first 2 shown]
.LBB0_11:
	s_or_b32 exec_lo, exec_lo, s1
	s_waitcnt vmcnt(0)
	v_add_f64 v[8:9], v[6:7], -v[42:43]
	v_add_f64 v[10:11], v[22:23], -v[14:15]
	v_add_f64 v[29:30], v[36:37], v[32:33]
	v_add_f64 v[46:47], v[12:13], v[20:21]
	;; [unrolled: 1-line block ×3, first 2 shown]
	s_mov_b32 s20, 0x523c161c
	s_mov_b32 s6, 0x8c811c17
	;; [unrolled: 1-line block ×8, first 2 shown]
	v_add_f64 v[50:51], v[34:35], -v[38:39]
	s_mov_b32 s18, 0x7e0b738b
	s_mov_b32 s19, 0x3fc63a1a
	v_add_f64 v[64:65], v[24:25], v[16:17]
	v_add_f64 v[73:74], v[18:19], -v[26:27]
	s_mov_b32 s16, 0xe8584cab
	s_mov_b32 s17, 0x3febb67a
	;; [unrolled: 1-line block ×4, first 2 shown]
	v_mul_f64 v[52:53], v[8:9], s[20:21]
	v_mul_f64 v[54:55], v[10:11], s[4:5]
	;; [unrolled: 1-line block ×3, first 2 shown]
	v_fma_f64 v[58:59], v[29:30], s[10:11], v[0:1]
	v_fma_f64 v[60:61], v[46:47], s[10:11], v[0:1]
	v_fma_f64 v[62:63], v[48:49], s[10:11], v[0:1]
	v_add_f64 v[75:76], v[29:30], v[48:49]
	v_add_f64 v[79:80], v[10:11], v[8:9]
	s_mov_b32 s22, 0x748a0bf8
	s_mov_b32 s24, 0x42522d1b
	;; [unrolled: 1-line block ×4, first 2 shown]
	v_add_f64 v[77:78], v[64:65], v[0:1]
	v_fma_f64 v[52:53], v[50:51], s[6:7], v[52:53]
	v_fma_f64 v[54:55], v[8:9], s[6:7], v[54:55]
	v_fma_f64 v[56:57], v[50:51], s[4:5], -v[56:57]
	v_fma_f64 v[58:59], v[46:47], s[18:19], v[58:59]
	v_fma_f64 v[60:61], v[48:49], s[18:19], v[60:61]
	;; [unrolled: 1-line block ×3, first 2 shown]
	v_add_f64 v[81:82], v[46:47], v[75:76]
	v_add_f64 v[75:76], v[64:65], v[75:76]
	v_fma_f64 v[52:53], v[73:74], s[16:17], v[52:53]
	v_fma_f64 v[54:55], v[73:74], s[14:15], v[54:55]
	;; [unrolled: 1-line block ×3, first 2 shown]
	v_fma_f64 v[58:59], v[64:65], -0.5, v[58:59]
	v_fma_f64 v[60:61], v[64:65], -0.5, v[60:61]
	;; [unrolled: 1-line block ×3, first 2 shown]
	v_add_f64 v[64:65], v[79:80], -v[50:51]
	v_fma_f64 v[73:74], v[81:82], -0.5, v[77:78]
	v_add_f64 v[75:76], v[20:21], v[75:76]
	v_fma_f64 v[10:11], v[10:11], s[22:23], v[52:53]
	v_fma_f64 v[52:53], v[50:51], s[22:23], v[54:55]
	;; [unrolled: 1-line block ×6, first 2 shown]
	v_mul_f64 v[58:59], v[64:65], s[16:17]
	v_fma_f64 v[50:51], v[64:65], s[16:17], v[73:74]
	v_add_f64 v[60:61], v[12:13], v[75:76]
	v_lshlrev_b32_e32 v75, 3, v67
	v_add_f64 v[62:63], v[56:57], v[8:9]
	v_add_f64 v[48:49], v[52:53], v[29:30]
	;; [unrolled: 1-line block ×3, first 2 shown]
                                        ; implicit-def: $vgpr30_vgpr31
	v_fma_f64 v[8:9], v[58:59], -2.0, v[50:51]
	v_add_f64 v[46:47], v[0:1], v[60:61]
	v_and_b32_e32 v0, 1, v28
	v_lshlrev_b32_e32 v58, 6, v67
	v_cmp_eq_u32_e64 s0, 1, v0
	v_cndmask_b32_e64 v0, 0, 0x37b, s0
	v_cmp_gt_u32_e64 s0, 0x51, v67
	v_lshlrev_b32_e32 v73, 3, v0
	v_fma_f64 v[64:65], v[56:57], -2.0, v[62:63]
	v_fma_f64 v[52:53], v[52:53], -2.0, v[48:49]
	;; [unrolled: 1-line block ×3, first 2 shown]
	v_mad_u32_u24 v56, 0x48, v67, 0
	v_lshl_add_u32 v57, v0, 3, v56
	ds_write2_b64 v57, v[46:47], v[54:55] offset1:1
	ds_write2_b64 v57, v[48:49], v[50:51] offset0:2 offset1:3
	ds_write2_b64 v57, v[62:63], v[64:65] offset0:4 offset1:5
	;; [unrolled: 1-line block ×3, first 2 shown]
	ds_write_b64 v57, v[10:11] offset:64
	s_waitcnt lgkmcnt(0)
	s_barrier
	buffer_gl0_inv
	s_and_saveexec_b32 s1, s0
	s_cbranch_execz .LBB0_13
; %bb.12:
	v_sub_nc_u32_e32 v0, v56, v58
	v_add_nc_u32_e32 v0, v0, v73
	v_add_nc_u32_e32 v1, 0x1000, v0
	;; [unrolled: 1-line block ×4, first 2 shown]
	ds_read2_b64 v[59:62], v0 offset0:81 offset1:162
	ds_read2_b64 v[8:11], v1 offset0:55 offset1:136
	;; [unrolled: 1-line block ×4, first 2 shown]
	v_add3_u32 v1, 0, v73, v75
	v_add_nc_u32_e32 v0, 0x1400, v0
	ds_read_b64 v[46:47], v1
	ds_read2_b64 v[28:31], v0 offset0:89 offset1:170
	s_waitcnt lgkmcnt(5)
	v_mov_b32_e32 v48, v61
	s_waitcnt lgkmcnt(4)
	v_mov_b32_e32 v53, v9
	v_mov_b32_e32 v49, v62
	;; [unrolled: 1-line block ×3, first 2 shown]
	s_waitcnt lgkmcnt(3)
	v_mov_b32_e32 v8, v78
	v_mov_b32_e32 v64, v76
	s_waitcnt lgkmcnt(2)
	v_mov_b32_e32 v62, v82
	v_mov_b32_e32 v50, v80
	;; [unrolled: 1-line block ×8, first 2 shown]
.LBB0_13:
	s_or_b32 exec_lo, exec_lo, s1
	v_add_f64 v[0:1], v[4:5], -v[40:41]
	v_add_f64 v[4:5], v[20:21], -v[12:13]
	v_add_f64 v[12:13], v[38:39], v[34:35]
	v_add_f64 v[20:21], v[14:15], v[22:23]
	v_add_f64 v[6:7], v[42:43], v[6:7]
	v_add_f64 v[32:33], v[32:33], -v[36:37]
	v_add_f64 v[18:19], v[26:27], v[18:19]
	v_add_f64 v[16:17], v[16:17], -v[24:25]
	s_waitcnt lgkmcnt(0)
	s_barrier
	buffer_gl0_inv
	v_mul_f64 v[34:35], v[0:1], s[20:21]
	v_mul_f64 v[36:37], v[4:5], s[4:5]
	;; [unrolled: 1-line block ×3, first 2 shown]
	v_fma_f64 v[40:41], v[12:13], s[10:11], v[2:3]
	v_fma_f64 v[42:43], v[20:21], s[10:11], v[2:3]
	;; [unrolled: 1-line block ×3, first 2 shown]
	v_add_f64 v[26:27], v[12:13], v[6:7]
	v_add_f64 v[76:77], v[18:19], v[2:3]
	v_fma_f64 v[24:25], v[32:33], s[6:7], v[34:35]
	v_fma_f64 v[34:35], v[0:1], s[6:7], v[36:37]
	v_fma_f64 v[36:37], v[32:33], s[4:5], -v[38:39]
	v_fma_f64 v[38:39], v[20:21], s[18:19], v[40:41]
	v_fma_f64 v[40:41], v[6:7], s[18:19], v[42:43]
	;; [unrolled: 1-line block ×3, first 2 shown]
	v_add_f64 v[59:60], v[4:5], v[0:1]
	v_add_f64 v[78:79], v[20:21], v[26:27]
	;; [unrolled: 1-line block ×3, first 2 shown]
	v_fma_f64 v[24:25], v[16:17], s[16:17], v[24:25]
	v_fma_f64 v[34:35], v[16:17], s[14:15], v[34:35]
	;; [unrolled: 1-line block ×3, first 2 shown]
	v_fma_f64 v[36:37], v[18:19], -0.5, v[38:39]
	v_fma_f64 v[38:39], v[18:19], -0.5, v[40:41]
	;; [unrolled: 1-line block ×3, first 2 shown]
	v_add_f64 v[40:41], v[59:60], -v[32:33]
	v_fma_f64 v[42:43], v[78:79], -0.5, v[76:77]
	v_add_f64 v[22:23], v[22:23], v[26:27]
	v_fma_f64 v[4:5], v[4:5], s[22:23], v[24:25]
	v_fma_f64 v[26:27], v[32:33], s[22:23], v[34:35]
	;; [unrolled: 1-line block ×6, first 2 shown]
	v_mul_f64 v[34:35], v[40:41], s[16:17]
	v_fma_f64 v[20:21], v[40:41], s[14:15], v[42:43]
	v_add_f64 v[16:17], v[14:15], v[22:23]
	v_add_f64 v[14:15], v[0:1], -v[32:33]
	v_add_f64 v[18:19], v[6:7], -v[26:27]
	;; [unrolled: 1-line block ×3, first 2 shown]
                                        ; implicit-def: $vgpr6_vgpr7
	v_fma_f64 v[0:1], v[34:35], 2.0, v[20:21]
	v_add_f64 v[16:17], v[2:3], v[16:17]
	v_fma_f64 v[22:23], v[32:33], 2.0, v[14:15]
	v_fma_f64 v[12:13], v[26:27], 2.0, v[18:19]
	;; [unrolled: 1-line block ×3, first 2 shown]
	ds_write2_b64 v57, v[16:17], v[24:25] offset1:1
	ds_write2_b64 v57, v[18:19], v[20:21] offset0:2 offset1:3
	ds_write2_b64 v57, v[14:15], v[22:23] offset0:4 offset1:5
	;; [unrolled: 1-line block ×3, first 2 shown]
	ds_write_b64 v57, v[2:3] offset:64
	s_waitcnt lgkmcnt(0)
	s_barrier
	buffer_gl0_inv
	s_and_saveexec_b32 s1, s0
	s_cbranch_execz .LBB0_15
; %bb.14:
	v_sub_nc_u32_e32 v0, v56, v58
	v_add_nc_u32_e32 v4, v0, v73
	v_add_nc_u32_e32 v0, 0x1000, v4
	;; [unrolled: 1-line block ×4, first 2 shown]
	ds_read2_b64 v[24:27], v4 offset0:81 offset1:162
	ds_read2_b64 v[0:3], v0 offset0:55 offset1:136
	;; [unrolled: 1-line block ×4, first 2 shown]
	v_add3_u32 v5, 0, v73, v75
	v_add_nc_u32_e32 v4, 0x1400, v4
	ds_read_b64 v[16:17], v5
	ds_read2_b64 v[4:7], v4 offset0:89 offset1:170
	s_waitcnt lgkmcnt(5)
	v_mov_b32_e32 v18, v26
	s_waitcnt lgkmcnt(4)
	v_mov_b32_e32 v13, v1
	v_mov_b32_e32 v12, v0
	s_waitcnt lgkmcnt(3)
	v_mov_b32_e32 v0, v22
	v_mov_b32_e32 v1, v23
	;; [unrolled: 1-line block ×4, first 2 shown]
	s_waitcnt lgkmcnt(2)
	v_mov_b32_e32 v14, v34
	v_mov_b32_e32 v20, v32
	;; [unrolled: 1-line block ×5, first 2 shown]
.LBB0_15:
	s_or_b32 exec_lo, exec_lo, s1
	v_and_b32_e32 v26, 0xff, v67
	v_mov_b32_e32 v27, 10
	v_mul_lo_u16 v26, v26, 57
	v_lshrrev_b16 v120, 9, v26
	v_mul_lo_u16 v26, v120, 9
	v_sub_nc_u16 v74, v67, v26
	v_mul_u32_u24_sdwa v26, v74, v27 dst_sel:DWORD dst_unused:UNUSED_PAD src0_sel:BYTE_0 src1_sel:DWORD
	v_lshlrev_b32_e32 v26, 4, v26
	s_clause 0x9
	global_load_dwordx4 v[32:35], v26, s[8:9]
	global_load_dwordx4 v[36:39], v26, s[8:9] offset:16
	global_load_dwordx4 v[40:43], v26, s[8:9] offset:32
	;; [unrolled: 1-line block ×9, first 2 shown]
	s_waitcnt vmcnt(0) lgkmcnt(0)
	s_barrier
	buffer_gl0_inv
	v_mul_f64 v[26:27], v[24:25], v[34:35]
	v_mul_f64 v[34:35], v[54:55], v[34:35]
	;; [unrolled: 1-line block ×20, first 2 shown]
	v_fma_f64 v[58:59], v[54:55], v[32:33], -v[26:27]
	v_fma_f64 v[60:61], v[24:25], v[32:33], v[34:35]
	v_fma_f64 v[56:57], v[48:49], v[36:37], -v[56:57]
	v_fma_f64 v[54:55], v[18:19], v[36:37], v[38:39]
	;; [unrolled: 2-line block ×10, first 2 shown]
	v_and_b32_e32 v62, 0xffff, v120
	s_and_saveexec_b32 s1, s0
	s_cbranch_execz .LBB0_17
; %bb.16:
	v_add_f64 v[0:1], v[46:47], v[58:59]
	v_add_f64 v[2:3], v[60:61], -v[18:19]
	v_add_f64 v[8:9], v[32:33], -v[26:27]
	;; [unrolled: 1-line block ×4, first 2 shown]
	s_mov_b32 s18, 0xfd768dbf
	s_mov_b32 s22, 0xbb3a28a1
	;; [unrolled: 1-line block ×8, first 2 shown]
	v_add_f64 v[4:5], v[54:55], -v[20:21]
	v_add_f64 v[6:7], v[58:59], v[30:31]
	s_mov_b32 s21, 0xbfefac9e
	s_mov_b32 s25, 0x3fe14ced
	;; [unrolled: 1-line block ×7, first 2 shown]
	v_add_f64 v[0:1], v[0:1], v[56:57]
	v_mul_f64 v[80:81], v[2:3], s[18:19]
	v_mul_f64 v[84:85], v[2:3], s[22:23]
	;; [unrolled: 1-line block ×5, first 2 shown]
	s_mov_b32 s27, 0xbfed1bb4
	v_mul_f64 v[90:91], v[2:3], s[20:21]
	v_mul_f64 v[94:95], v[2:3], s[28:29]
	;; [unrolled: 1-line block ×3, first 2 shown]
	s_mov_b32 s11, 0xbfe4f49e
	s_mov_b32 s31, 0x3fefac9e
	;; [unrolled: 1-line block ×8, first 2 shown]
	v_add_f64 v[14:15], v[56:57], v[28:29]
	s_mov_b32 s7, 0x3feaeb8c
	s_mov_b32 s15, 0xbfc2375f
	;; [unrolled: 1-line block ×3, first 2 shown]
	v_add_f64 v[0:1], v[0:1], v[50:51]
	v_mul_f64 v[82:83], v[4:5], s[24:25]
	v_mul_f64 v[96:97], v[4:5], s[30:31]
	;; [unrolled: 1-line block ×5, first 2 shown]
	v_fma_f64 v[116:117], v[6:7], s[4:5], v[80:81]
	v_fma_f64 v[80:81], v[6:7], s[4:5], -v[80:81]
	v_fma_f64 v[118:119], v[6:7], s[10:11], v[84:85]
	v_fma_f64 v[84:85], v[6:7], s[10:11], -v[84:85]
	;; [unrolled: 2-line block ×3, first 2 shown]
	v_fma_f64 v[122:123], v[6:7], s[6:7], -v[94:95]
	v_fma_f64 v[124:125], v[6:7], s[16:17], -v[2:3]
	v_fma_f64 v[2:3], v[6:7], s[16:17], v[2:3]
	v_fma_f64 v[6:7], v[6:7], s[6:7], v[94:95]
	v_add_f64 v[63:64], v[50:51], v[52:53]
	v_mul_f64 v[102:103], v[12:13], s[22:23]
	v_mul_f64 v[104:105], v[12:13], s[28:29]
	;; [unrolled: 1-line block ×4, first 2 shown]
	v_add_f64 v[76:77], v[40:41], v[42:43]
	v_add_f64 v[0:1], v[0:1], v[40:41]
	v_fma_f64 v[126:127], v[14:15], s[6:7], v[82:83]
	v_fma_f64 v[82:83], v[14:15], s[6:7], -v[82:83]
	v_fma_f64 v[128:129], v[14:15], s[14:15], v[96:97]
	v_fma_f64 v[96:97], v[14:15], s[14:15], -v[96:97]
	;; [unrolled: 2-line block ×5, first 2 shown]
	v_add_f64 v[14:15], v[46:47], v[116:117]
	v_add_f64 v[80:81], v[46:47], v[80:81]
	;; [unrolled: 1-line block ×10, first 2 shown]
	v_mul_f64 v[108:109], v[10:11], s[18:19]
	v_add_f64 v[0:1], v[0:1], v[36:37]
	v_fma_f64 v[124:125], v[63:64], s[10:11], v[102:103]
	v_fma_f64 v[102:103], v[63:64], s[10:11], -v[102:103]
	v_fma_f64 v[136:137], v[63:64], s[6:7], v[104:105]
	v_fma_f64 v[104:105], v[63:64], s[6:7], -v[104:105]
	v_fma_f64 v[138:139], v[63:64], s[16:17], v[92:93]
	v_fma_f64 v[92:93], v[63:64], s[16:17], -v[92:93]
	v_fma_f64 v[140:141], v[63:64], s[4:5], v[106:107]
	v_fma_f64 v[106:107], v[63:64], s[4:5], -v[106:107]
	v_fma_f64 v[142:143], v[63:64], s[14:15], v[12:13]
	v_fma_f64 v[12:13], v[63:64], s[14:15], -v[12:13]
	v_add_f64 v[14:15], v[126:127], v[14:15]
	v_add_f64 v[63:64], v[82:83], v[80:81]
	;; [unrolled: 1-line block ×4, first 2 shown]
	v_mul_f64 v[110:111], v[10:11], s[28:29]
	v_mul_f64 v[112:113], v[10:11], s[22:23]
	;; [unrolled: 1-line block ×3, first 2 shown]
	v_add_f64 v[84:85], v[130:131], v[118:119]
	v_add_f64 v[90:91], v[98:99], v[90:91]
	;; [unrolled: 1-line block ×8, first 2 shown]
	v_mul_f64 v[114:115], v[8:9], s[20:21]
	v_mul_f64 v[94:95], v[8:9], s[22:23]
	;; [unrolled: 1-line block ×4, first 2 shown]
	v_fma_f64 v[98:99], v[76:77], s[16:17], v[86:87]
	v_fma_f64 v[86:87], v[76:77], s[16:17], -v[86:87]
	v_fma_f64 v[100:101], v[76:77], s[4:5], v[108:109]
	v_fma_f64 v[108:109], v[76:77], s[4:5], -v[108:109]
	v_add_f64 v[14:15], v[124:125], v[14:15]
	v_add_f64 v[63:64], v[102:103], v[63:64]
	;; [unrolled: 1-line block ×4, first 2 shown]
	v_fma_f64 v[116:117], v[76:77], s[6:7], v[110:111]
	v_fma_f64 v[110:111], v[76:77], s[6:7], -v[110:111]
	v_fma_f64 v[118:119], v[76:77], s[10:11], -v[112:113]
	v_fma_f64 v[120:121], v[76:77], s[14:15], v[10:11]
	v_fma_f64 v[10:11], v[76:77], s[14:15], -v[10:11]
	v_add_f64 v[84:85], v[138:139], v[84:85]
	v_add_f64 v[0:1], v[0:1], v[42:43]
	;; [unrolled: 1-line block ×6, first 2 shown]
	v_fma_f64 v[76:77], v[76:77], s[10:11], v[112:113]
	v_add_f64 v[6:7], v[142:143], v[6:7]
	v_fma_f64 v[92:93], v[78:79], s[14:15], v[114:115]
	v_fma_f64 v[96:97], v[78:79], s[14:15], -v[114:115]
	v_fma_f64 v[102:103], v[78:79], s[16:17], v[88:89]
	v_fma_f64 v[88:89], v[78:79], s[16:17], -v[88:89]
	;; [unrolled: 2-line block ×5, first 2 shown]
	v_add_f64 v[14:15], v[98:99], v[14:15]
	v_add_f64 v[63:64], v[86:87], v[63:64]
	;; [unrolled: 1-line block ×21, first 2 shown]
	v_mov_b32_e32 v10, 3
	v_add_f64 v[6:7], v[112:113], v[6:7]
	v_mad_u32_u24 v11, 0x318, v62, 0
	v_lshlrev_b32_sdwa v10, v10, v74 dst_sel:DWORD dst_unused:UNUSED_PAD src0_sel:DWORD src1_sel:BYTE_0
	v_add3_u32 v10, v11, v10, v73
	v_add_f64 v[0:1], v[0:1], v[30:31]
	ds_write2_b64 v10, v[76:77], v[14:15] offset0:36 offset1:45
	ds_write2_b64 v10, v[12:13], v[63:64] offset0:54 offset1:63
	;; [unrolled: 1-line block ×4, first 2 shown]
	ds_write2_b64 v10, v[0:1], v[4:5] offset1:9
	ds_write_b64 v10, v[6:7] offset:720
.LBB0_17:
	s_or_b32 exec_lo, exec_lo, s1
	v_add3_u32 v64, 0, v75, v73
	v_add3_u32 v63, 0, v73, v75
	s_waitcnt lgkmcnt(0)
	s_barrier
	buffer_gl0_inv
	v_add_nc_u32_e32 v65, 0x800, v64
	v_add_nc_u32_e32 v75, 0xc00, v64
	;; [unrolled: 1-line block ×3, first 2 shown]
	ds_read_b64 v[46:47], v63
	ds_read2_b64 v[8:11], v65 offset0:41 offset1:140
	ds_read2_b64 v[4:7], v75 offset0:111 offset1:210
	;; [unrolled: 1-line block ×4, first 2 shown]
	s_waitcnt lgkmcnt(0)
	s_barrier
	buffer_gl0_inv
	s_and_saveexec_b32 s28, s0
	s_cbranch_execz .LBB0_19
; %bb.18:
	v_add_f64 v[77:78], v[16:17], v[60:61]
	v_add_f64 v[30:31], v[58:59], -v[30:31]
	v_add_f64 v[50:51], v[50:51], -v[52:53]
	s_mov_b32 s18, 0xf8bb580b
	s_mov_b32 s20, 0x43842ef
	;; [unrolled: 1-line block ×10, first 2 shown]
	v_add_f64 v[60:61], v[60:61], v[18:19]
	v_add_f64 v[28:29], v[56:57], -v[28:29]
	v_add_f64 v[36:37], v[36:37], -v[38:39]
	v_add_f64 v[56:57], v[34:35], v[24:25]
	s_mov_b32 s0, 0x8764f0ba
	s_mov_b32 s4, 0xd9c712b6
	;; [unrolled: 1-line block ×5, first 2 shown]
	v_add_f64 v[58:59], v[77:78], v[54:55]
	v_mul_f64 v[38:39], v[30:31], s[18:19]
	v_mul_f64 v[77:78], v[30:31], s[20:21]
	;; [unrolled: 1-line block ×3, first 2 shown]
	s_mov_b32 s7, 0xbfc2375f
	s_mov_b32 s14, 0x7f775887
	;; [unrolled: 1-line block ×11, first 2 shown]
	v_add_f64 v[54:55], v[54:55], v[20:21]
	v_mul_f64 v[81:82], v[28:29], s[10:11]
	v_mul_f64 v[83:84], v[28:29], s[22:23]
	;; [unrolled: 1-line block ×5, first 2 shown]
	v_add_f64 v[40:41], v[40:41], -v[42:43]
	v_add_f64 v[52:53], v[58:59], v[48:49]
	v_mul_f64 v[58:59], v[30:31], s[10:11]
	v_mul_f64 v[30:31], v[30:31], s[24:25]
	v_fma_f64 v[111:112], v[60:61], s[0:1], v[38:39]
	v_fma_f64 v[115:116], v[60:61], s[6:7], v[77:78]
	;; [unrolled: 1-line block ×3, first 2 shown]
	v_fma_f64 v[79:80], v[60:61], s[14:15], -v[79:80]
	v_fma_f64 v[77:78], v[60:61], s[6:7], -v[77:78]
	v_add_f64 v[42:43], v[32:33], v[26:27]
	s_mov_b32 s11, 0x3fed1bb4
	v_add_f64 v[48:49], v[48:49], v[22:23]
	v_mul_f64 v[89:90], v[50:51], s[20:21]
	v_mul_f64 v[91:92], v[50:51], s[18:19]
	;; [unrolled: 1-line block ×7, first 2 shown]
	v_fma_f64 v[121:122], v[54:55], s[16:17], v[85:86]
	v_fma_f64 v[85:86], v[54:55], s[16:17], -v[85:86]
	v_fma_f64 v[123:124], v[54:55], s[6:7], v[87:88]
	v_fma_f64 v[87:88], v[54:55], s[6:7], -v[87:88]
	v_add_f64 v[34:35], v[52:53], v[34:35]
	v_fma_f64 v[113:114], v[60:61], s[4:5], v[58:59]
	v_fma_f64 v[58:59], v[60:61], s[4:5], -v[58:59]
	v_fma_f64 v[119:120], v[60:61], s[16:17], v[30:31]
	v_fma_f64 v[30:31], v[60:61], s[16:17], -v[30:31]
	v_mul_f64 v[52:53], v[50:51], s[26:27]
	v_fma_f64 v[125:126], v[54:55], s[0:1], v[28:29]
	v_fma_f64 v[28:29], v[54:55], s[0:1], -v[28:29]
	v_add_f64 v[79:80], v[16:17], v[79:80]
	v_add_f64 v[77:78], v[16:17], v[77:78]
	v_mul_f64 v[95:96], v[40:41], s[22:23]
	v_mul_f64 v[97:98], v[40:41], s[30:31]
	;; [unrolled: 1-line block ×4, first 2 shown]
	v_fma_f64 v[127:128], v[48:49], s[14:15], v[93:94]
	v_fma_f64 v[93:94], v[48:49], s[14:15], -v[93:94]
	v_add_f64 v[32:33], v[34:35], v[32:33]
	v_fma_f64 v[34:35], v[60:61], s[0:1], -v[38:39]
	v_mul_f64 v[38:39], v[50:51], s[10:11]
	v_fma_f64 v[50:51], v[54:55], s[4:5], v[81:82]
	v_fma_f64 v[60:61], v[54:55], s[4:5], -v[81:82]
	v_fma_f64 v[81:82], v[54:55], s[14:15], v[83:84]
	v_fma_f64 v[83:84], v[54:55], s[14:15], -v[83:84]
	v_add_f64 v[54:55], v[16:17], v[111:112]
	v_add_f64 v[111:112], v[16:17], v[113:114]
	;; [unrolled: 1-line block ×7, first 2 shown]
	v_fma_f64 v[119:120], v[48:49], s[0:1], v[91:92]
	v_fma_f64 v[91:92], v[48:49], s[0:1], -v[91:92]
	v_add_f64 v[79:80], v[87:88], v[79:80]
	v_fma_f64 v[87:88], v[56:57], s[0:1], v[99:100]
	v_add_f64 v[26:27], v[32:33], v[26:27]
	v_add_f64 v[16:17], v[16:17], v[34:35]
	v_mul_f64 v[32:33], v[40:41], s[10:11]
	v_fma_f64 v[34:35], v[48:49], s[6:7], v[89:90]
	v_fma_f64 v[40:41], v[48:49], s[6:7], -v[89:90]
	v_fma_f64 v[89:90], v[48:49], s[16:17], v[52:53]
	v_fma_f64 v[52:53], v[48:49], s[16:17], -v[52:53]
	v_fma_f64 v[129:130], v[48:49], s[4:5], v[38:39]
	v_fma_f64 v[38:39], v[48:49], s[4:5], -v[38:39]
	v_add_f64 v[48:49], v[50:51], v[54:55]
	v_add_f64 v[50:51], v[81:82], v[111:112]
	v_add_f64 v[54:55], v[83:84], v[58:59]
	v_add_f64 v[58:59], v[121:122], v[113:114]
	v_add_f64 v[81:82], v[123:124], v[115:116]
	v_add_f64 v[83:84], v[125:126], v[117:118]
	v_add_f64 v[28:29], v[28:29], v[30:31]
	v_add_f64 v[30:31], v[85:86], v[77:78]
	v_fma_f64 v[77:78], v[56:57], s[6:7], v[97:98]
	v_fma_f64 v[85:86], v[56:57], s[6:7], -v[97:98]
	v_fma_f64 v[97:98], v[56:57], s[16:17], v[101:102]
	v_add_f64 v[24:25], v[26:27], v[24:25]
	v_add_f64 v[16:17], v[60:61], v[16:17]
	v_mul_f64 v[26:27], v[36:37], s[10:11]
	v_fma_f64 v[36:37], v[56:57], s[14:15], v[95:96]
	v_fma_f64 v[60:61], v[56:57], s[14:15], -v[95:96]
	v_fma_f64 v[95:96], v[56:57], s[0:1], -v[99:100]
	;; [unrolled: 1-line block ×3, first 2 shown]
	v_fma_f64 v[101:102], v[56:57], s[4:5], v[32:33]
	v_fma_f64 v[32:33], v[56:57], s[4:5], -v[32:33]
	v_add_f64 v[34:35], v[34:35], v[48:49]
	v_add_f64 v[48:49], v[89:90], v[50:51]
	;; [unrolled: 1-line block ×9, first 2 shown]
	v_fma_f64 v[81:82], v[42:43], s[14:15], v[107:108]
	v_fma_f64 v[38:39], v[42:43], s[16:17], -v[103:104]
	v_fma_f64 v[79:80], v[42:43], s[0:1], -v[105:106]
	;; [unrolled: 1-line block ×3, first 2 shown]
	v_add_f64 v[22:23], v[24:25], v[22:23]
	v_add_f64 v[16:17], v[40:41], v[16:17]
	v_fma_f64 v[24:25], v[42:43], s[16:17], v[103:104]
	v_fma_f64 v[40:41], v[42:43], s[0:1], v[105:106]
	;; [unrolled: 1-line block ×3, first 2 shown]
	v_fma_f64 v[91:92], v[42:43], s[6:7], -v[109:110]
	v_fma_f64 v[93:94], v[42:43], s[4:5], v[26:27]
	v_fma_f64 v[26:27], v[42:43], s[4:5], -v[26:27]
	v_add_f64 v[34:35], v[36:37], v[34:35]
	v_add_f64 v[36:37], v[77:78], v[48:49]
	;; [unrolled: 1-line block ×22, first 2 shown]
	v_mov_b32_e32 v20, 3
	v_mad_u32_u24 v21, 0x318, v62, 0
	v_lshlrev_b32_sdwa v20, v20, v74 dst_sel:DWORD dst_unused:UNUSED_PAD src0_sel:DWORD src1_sel:BYTE_0
	v_add3_u32 v20, v21, v20, v73
	ds_write2_b64 v20, v[24:25], v[34:35] offset0:18 offset1:27
	ds_write2_b64 v20, v[36:37], v[40:41] offset0:36 offset1:45
	;; [unrolled: 1-line block ×4, first 2 shown]
	ds_write2_b64 v20, v[18:19], v[22:23] offset1:9
	ds_write_b64 v20, v[16:17] offset:720
.LBB0_19:
	s_or_b32 exec_lo, exec_lo, s28
	v_mov_b32_e32 v16, 0xa57f
	v_lshlrev_b32_e32 v20, 1, v67
	v_mov_b32_e32 v21, 0
	s_waitcnt lgkmcnt(0)
	s_barrier
	v_mul_u32_u24_sdwa v16, v68, v16 dst_sel:DWORD dst_unused:UNUSED_PAD src0_sel:WORD_0 src1_sel:DWORD
	buffer_gl0_inv
	s_mov_b32 s5, 0xbfebb67a
	v_lshrrev_b32_e32 v16, 22, v16
	v_mul_lo_u16 v18, 0x63, v16
	v_lshlrev_b64 v[16:17], 4, v[20:21]
	v_mov_b32_e32 v20, 5
	v_sub_nc_u16 v62, v68, v18
	v_add_co_u32 v18, s0, s8, v16
	v_add_co_ci_u32_e64 v19, s0, s9, v17, s0
	v_lshlrev_b32_sdwa v16, v20, v62 dst_sel:DWORD dst_unused:UNUSED_PAD src0_sel:DWORD src1_sel:WORD_0
	s_mov_b32 s0, 0xe8584caa
	s_clause 0x3
	global_load_dwordx4 v[22:25], v[18:19], off offset:1440
	global_load_dwordx4 v[26:29], v[18:19], off offset:1456
	global_load_dwordx4 v[30:33], v16, s[8:9] offset:1440
	global_load_dwordx4 v[34:37], v16, s[8:9] offset:1456
	ds_read2_b64 v[38:41], v65 offset0:41 offset1:140
	ds_read2_b64 v[48:51], v75 offset0:111 offset1:210
	ds_read2_b64 v[52:55], v76 offset0:53 offset1:152
	s_mov_b32 s1, 0x3febb67a
	s_mov_b32 s4, s0
	v_mov_b32_e32 v20, 3
	v_lshlrev_b32_sdwa v20, v20, v62 dst_sel:DWORD dst_unused:UNUSED_PAD src0_sel:DWORD src1_sel:WORD_0
	v_add3_u32 v20, 0, v20, v73
	s_waitcnt vmcnt(3) lgkmcnt(2)
	v_mul_f64 v[16:17], v[38:39], v[24:25]
	s_waitcnt vmcnt(2) lgkmcnt(1)
	v_mul_f64 v[42:43], v[50:51], v[28:29]
	v_mul_f64 v[56:57], v[40:41], v[24:25]
	s_waitcnt lgkmcnt(0)
	v_mul_f64 v[58:59], v[52:53], v[28:29]
	s_waitcnt vmcnt(1)
	v_mul_f64 v[60:61], v[48:49], v[32:33]
	s_waitcnt vmcnt(0)
	v_mul_f64 v[77:78], v[54:55], v[36:37]
	v_mul_f64 v[79:80], v[8:9], v[24:25]
	;; [unrolled: 1-line block ×7, first 2 shown]
	v_fma_f64 v[8:9], v[8:9], v[22:23], -v[16:17]
	v_fma_f64 v[16:17], v[6:7], v[26:27], -v[42:43]
	v_fma_f64 v[10:11], v[10:11], v[22:23], -v[56:57]
	v_fma_f64 v[12:13], v[12:13], v[26:27], -v[58:59]
	v_fma_f64 v[42:43], v[4:5], v[30:31], -v[60:61]
	v_fma_f64 v[14:15], v[14:15], v[34:35], -v[77:78]
	v_fma_f64 v[38:39], v[38:39], v[22:23], v[79:80]
	v_fma_f64 v[50:51], v[50:51], v[26:27], v[81:82]
	;; [unrolled: 1-line block ×6, first 2 shown]
	ds_read_b64 v[36:37], v63
	ds_read2_b64 v[4:7], v64 offset0:99 offset1:198
	s_waitcnt lgkmcnt(0)
	s_barrier
	buffer_gl0_inv
	v_add_f64 v[40:41], v[46:47], v[8:9]
	v_add_f64 v[30:31], v[8:9], v[16:17]
	;; [unrolled: 1-line block ×6, first 2 shown]
	v_add_f64 v[8:9], v[8:9], -v[16:17]
	v_add_f64 v[48:49], v[38:39], -v[50:51]
	v_add_f64 v[52:53], v[38:39], v[50:51]
	v_add_f64 v[56:57], v[22:23], v[24:25]
	v_add_f64 v[10:11], v[10:11], -v[12:13]
	v_add_f64 v[60:61], v[26:27], v[28:29]
	v_add_f64 v[16:17], v[40:41], v[16:17]
	v_fma_f64 v[30:31], v[30:31], -0.5, v[46:47]
	v_add_f64 v[46:47], v[22:23], -v[24:25]
	v_fma_f64 v[0:1], v[32:33], -0.5, v[0:1]
	v_add_f64 v[32:33], v[26:27], -v[28:29]
	v_fma_f64 v[2:3], v[34:35], -0.5, v[2:3]
	v_add_f64 v[34:35], v[36:37], v[38:39]
	v_add_f64 v[22:23], v[4:5], v[22:23]
	;; [unrolled: 1-line block ×3, first 2 shown]
	v_add_f64 v[38:39], v[42:43], -v[14:15]
	v_fma_f64 v[36:37], v[52:53], -0.5, v[36:37]
	v_fma_f64 v[4:5], v[56:57], -0.5, v[4:5]
	;; [unrolled: 1-line block ×3, first 2 shown]
	v_add_f64 v[12:13], v[54:55], v[12:13]
	v_add_f64 v[14:15], v[58:59], v[14:15]
	v_add_nc_u32_e32 v52, 0x400, v64
	v_add_nc_u32_e32 v53, 0x1000, v20
	v_fma_f64 v[40:41], v[48:49], s[0:1], v[30:31]
	v_fma_f64 v[30:31], v[48:49], s[4:5], v[30:31]
	;; [unrolled: 1-line block ×6, first 2 shown]
	v_add_f64 v[32:33], v[34:35], v[50:51]
	v_add_f64 v[22:23], v[22:23], v[24:25]
	;; [unrolled: 1-line block ×3, first 2 shown]
	v_fma_f64 v[26:27], v[8:9], s[4:5], v[36:37]
	v_fma_f64 v[28:29], v[8:9], s[0:1], v[36:37]
	;; [unrolled: 1-line block ×6, first 2 shown]
	ds_write2_b64 v64, v[16:17], v[40:41] offset1:99
	ds_write2_b64 v52, v[30:31], v[12:13] offset0:70 offset1:169
	ds_write2_b64 v65, v[42:43], v[0:1] offset0:140 offset1:239
	;; [unrolled: 1-line block ×3, first 2 shown]
	ds_write_b64 v20, v[2:3] offset:6336
	s_waitcnt lgkmcnt(0)
	s_barrier
	buffer_gl0_inv
	ds_read_b64 v[16:17], v63
	ds_read2_b64 v[4:7], v65 offset0:41 offset1:140
	ds_read2_b64 v[12:15], v75 offset0:111 offset1:210
	;; [unrolled: 1-line block ×4, first 2 shown]
	s_waitcnt lgkmcnt(0)
	s_barrier
	buffer_gl0_inv
	ds_write2_b64 v64, v[32:33], v[26:27] offset1:99
	ds_write2_b64 v52, v[28:29], v[22:23] offset0:70 offset1:169
	ds_write2_b64 v65, v[34:35], v[36:37] offset0:140 offset1:239
	;; [unrolled: 1-line block ×3, first 2 shown]
	ds_write_b64 v20, v[38:39] offset:6336
	s_waitcnt lgkmcnt(0)
	s_barrier
	buffer_gl0_inv
	s_and_saveexec_b32 s6, vcc_lo
	s_cbranch_execz .LBB0_21
; %bb.20:
	v_lshlrev_b32_e32 v20, 1, v68
	v_add_nc_u32_e32 v42, 0xc00, v64
	v_add_nc_u32_e32 v50, 0x1400, v64
	;; [unrolled: 1-line block ×3, first 2 shown]
	v_mad_u64_u32 v[60:61], null, s2, v67, 0
	v_lshlrev_b64 v[22:23], 4, v[20:21]
	v_lshlrev_b32_e32 v20, 1, v66
	v_mul_hi_u32 v79, 0xdca8f159, v68
	v_mad_u64_u32 v[73:74], null, s2, v66, 0
	v_mad_u64_u32 v[75:76], null, s2, v69, 0
	v_add_co_u32 v22, vcc_lo, s8, v22
	v_add_co_ci_u32_e32 v23, vcc_lo, s9, v23, vcc_lo
	v_lshlrev_b64 v[20:21], 4, v[20:21]
	v_add_co_u32 v30, vcc_lo, 0x1200, v22
	v_add_co_ci_u32_e32 v31, vcc_lo, 0, v23, vcc_lo
	v_add_co_u32 v26, vcc_lo, 0x1000, v22
	v_add_co_ci_u32_e32 v27, vcc_lo, 0, v23, vcc_lo
	;; [unrolled: 2-line block ×6, first 2 shown]
	v_add_co_u32 v38, vcc_lo, 0x1200, v28
	s_clause 0x1
	global_load_dwordx4 v[18:21], v[18:19], off offset:512
	global_load_dwordx4 v[22:25], v[22:23], off offset:16
	v_add_co_ci_u32_e32 v39, vcc_lo, 0, v29, vcc_lo
	s_clause 0x3
	global_load_dwordx4 v[26:29], v[26:27], off offset:512
	global_load_dwordx4 v[30:33], v[30:31], off offset:16
	;; [unrolled: 1-line block ×4, first 2 shown]
	v_add_co_u32 v93, vcc_lo, s12, v44
	ds_read2_b64 v[46:49], v64 offset0:99 offset1:198
	ds_read_b64 v[58:59], v63
	v_add_co_ci_u32_e32 v94, vcc_lo, s13, v45, vcc_lo
	ds_read2_b64 v[42:45], v42 offset0:111 offset1:210
	ds_read2_b64 v[50:53], v50 offset0:53 offset1:152
	;; [unrolled: 1-line block ×3, first 2 shown]
	v_mad_u64_u32 v[62:63], null, s2, v70, 0
	v_mad_u64_u32 v[64:65], null, s2, v72, 0
	v_lshrrev_b32_e32 v83, 8, v79
	v_mad_u64_u32 v[77:78], null, s2, v71, 0
	v_mad_u64_u32 v[79:80], null, s3, v67, v[61:62]
	;; [unrolled: 1-line block ×5, first 2 shown]
	v_mad_u32_u24 v91, 0x252, v83, v68
	v_mad_u64_u32 v[67:68], null, s3, v69, v[76:77]
	v_mad_u64_u32 v[68:69], null, s3, v71, v[78:79]
	v_mov_b32_e32 v61, v79
	v_mov_b32_e32 v63, v80
	;; [unrolled: 1-line block ×3, first 2 shown]
	v_mad_u64_u32 v[69:70], null, s2, v91, 0
	v_add_nc_u32_e32 v96, 0x252, v91
	v_add_nc_u32_e32 v95, 0x129, v91
	v_mov_b32_e32 v78, v68
	v_mov_b32_e32 v74, v66
	;; [unrolled: 1-line block ×3, first 2 shown]
	v_mad_u64_u32 v[71:72], null, s2, v96, 0
	v_mov_b32_e32 v68, v70
	v_mad_u64_u32 v[66:67], null, s2, v95, 0
	v_lshlrev_b64 v[60:61], 4, v[60:61]
	v_lshlrev_b64 v[62:63], 4, v[62:63]
	v_mad_u64_u32 v[91:92], null, s3, v91, v[68:69]
	v_mov_b32_e32 v68, v72
	v_lshlrev_b64 v[64:65], 4, v[64:65]
	v_add_co_u32 v60, vcc_lo, v93, v60
	v_add_co_ci_u32_e32 v61, vcc_lo, v94, v61, vcc_lo
	v_lshlrev_b64 v[73:74], 4, v[73:74]
	v_lshlrev_b64 v[75:76], 4, v[75:76]
	v_mov_b32_e32 v70, v91
	v_lshlrev_b64 v[77:78], 4, v[77:78]
	s_waitcnt vmcnt(5) lgkmcnt(0)
	v_mul_f64 v[79:80], v[54:55], v[20:21]
	s_waitcnt vmcnt(4)
	v_mul_f64 v[81:82], v[44:45], v[24:25]
	v_mul_f64 v[20:21], v[4:5], v[20:21]
	;; [unrolled: 1-line block ×3, first 2 shown]
	s_waitcnt vmcnt(3)
	v_mul_f64 v[83:84], v[12:13], v[28:29]
	s_waitcnt vmcnt(2)
	v_mul_f64 v[85:86], v[10:11], v[32:33]
	;; [unrolled: 2-line block ×4, first 2 shown]
	v_mul_f64 v[36:37], v[56:57], v[36:37]
	v_mul_f64 v[40:41], v[50:51], v[40:41]
	;; [unrolled: 1-line block ×4, first 2 shown]
	v_fma_f64 v[4:5], v[4:5], v[18:19], -v[79:80]
	v_fma_f64 v[14:15], v[14:15], v[22:23], -v[81:82]
	v_fma_f64 v[18:19], v[18:19], v[54:55], v[20:21]
	v_fma_f64 v[20:21], v[22:23], v[44:45], v[24:25]
	v_fma_f64 v[22:23], v[26:27], v[42:43], v[83:84]
	v_fma_f64 v[24:25], v[30:31], v[52:53], v[85:86]
	v_fma_f64 v[42:43], v[34:35], v[56:57], v[87:88]
	v_fma_f64 v[44:45], v[38:39], v[50:51], v[89:90]
	v_fma_f64 v[6:7], v[6:7], v[34:35], -v[36:37]
	v_fma_f64 v[8:9], v[8:9], v[38:39], -v[40:41]
	;; [unrolled: 1-line block ×4, first 2 shown]
	v_mad_u64_u32 v[26:27], null, s3, v95, v[67:68]
	v_add_co_u32 v36, vcc_lo, v93, v62
	v_add_co_ci_u32_e32 v37, vcc_lo, v94, v63, vcc_lo
	v_add_co_u32 v38, vcc_lo, v93, v64
	v_add_co_ci_u32_e32 v39, vcc_lo, v94, v65, vcc_lo
	v_add_co_u32 v40, vcc_lo, v93, v73
	v_add_f64 v[29:30], v[4:5], v[14:15]
	v_add_f64 v[27:28], v[18:19], v[20:21]
	v_add_co_ci_u32_e32 v41, vcc_lo, v94, v74, vcc_lo
	v_add_f64 v[31:32], v[22:23], v[24:25]
	v_add_f64 v[33:34], v[42:43], v[44:45]
	v_add_co_u32 v50, vcc_lo, v93, v75
	v_add_f64 v[52:53], v[6:7], v[8:9]
	v_add_f64 v[54:55], v[12:13], v[10:11]
	v_add_f64 v[62:63], v[4:5], -v[14:15]
	v_add_f64 v[64:65], v[18:19], v[58:59]
	v_add_f64 v[4:5], v[16:17], v[4:5]
	v_add_co_ci_u32_e32 v51, vcc_lo, v94, v76, vcc_lo
	v_mov_b32_e32 v67, v26
	v_add_f64 v[73:74], v[18:19], -v[20:21]
	v_add_f64 v[75:76], v[12:13], -v[10:11]
	v_add_f64 v[18:19], v[22:23], v[48:49]
	v_add_f64 v[12:13], v[2:3], v[12:13]
	;; [unrolled: 1-line block ×4, first 2 shown]
	v_fma_f64 v[16:17], v[29:30], -0.5, v[16:17]
	v_fma_f64 v[26:27], v[27:28], -0.5, v[58:59]
	v_add_f64 v[28:29], v[6:7], -v[8:9]
	v_mad_u64_u32 v[56:57], null, s3, v96, v[68:69]
	v_fma_f64 v[48:49], v[31:32], -0.5, v[48:49]
	v_fma_f64 v[30:31], v[33:34], -0.5, v[46:47]
	v_add_f64 v[32:33], v[42:43], -v[44:45]
	v_fma_f64 v[34:35], v[52:53], -0.5, v[0:1]
	v_add_f64 v[57:58], v[22:23], -v[24:25]
	v_fma_f64 v[42:43], v[54:55], -0.5, v[2:3]
	v_add_f64 v[2:3], v[64:65], v[20:21]
	v_add_f64 v[0:1], v[4:5], v[14:15]
	v_lshlrev_b64 v[52:53], 4, v[69:70]
	v_mov_b32_e32 v72, v56
	v_add_co_u32 v46, vcc_lo, v93, v77
	v_lshlrev_b64 v[54:55], 4, v[66:67]
	v_add_f64 v[6:7], v[24:25], v[18:19]
	v_add_f64 v[4:5], v[12:13], v[10:11]
	;; [unrolled: 1-line block ×4, first 2 shown]
	v_fma_f64 v[12:13], v[73:74], s[4:5], v[16:17]
	v_fma_f64 v[18:19], v[62:63], s[4:5], v[26:27]
	;; [unrolled: 1-line block ×4, first 2 shown]
	v_add_co_ci_u32_e32 v47, vcc_lo, v94, v78, vcc_lo
	v_fma_f64 v[26:27], v[28:29], s[0:1], v[30:31]
	v_fma_f64 v[30:31], v[28:29], s[4:5], v[30:31]
	;; [unrolled: 1-line block ×8, first 2 shown]
	v_lshlrev_b64 v[42:43], 4, v[71:72]
	v_add_co_u32 v44, vcc_lo, v93, v52
	v_add_co_ci_u32_e32 v45, vcc_lo, v94, v53, vcc_lo
	v_add_co_u32 v48, vcc_lo, v93, v54
	v_add_co_ci_u32_e32 v49, vcc_lo, v94, v55, vcc_lo
	;; [unrolled: 2-line block ×3, first 2 shown]
	global_store_dwordx4 v[60:61], v[0:3], off
	global_store_dwordx4 v[36:37], v[16:19], off
	;; [unrolled: 1-line block ×9, first 2 shown]
.LBB0_21:
	s_endpgm
	.section	.rodata,"a",@progbits
	.p2align	6, 0x0
	.amdhsa_kernel fft_rtc_fwd_len891_factors_9_11_3_3_wgs_198_tpt_99_halfLds_dp_ip_CI_sbrr_dirReg
		.amdhsa_group_segment_fixed_size 0
		.amdhsa_private_segment_fixed_size 0
		.amdhsa_kernarg_size 88
		.amdhsa_user_sgpr_count 6
		.amdhsa_user_sgpr_private_segment_buffer 1
		.amdhsa_user_sgpr_dispatch_ptr 0
		.amdhsa_user_sgpr_queue_ptr 0
		.amdhsa_user_sgpr_kernarg_segment_ptr 1
		.amdhsa_user_sgpr_dispatch_id 0
		.amdhsa_user_sgpr_flat_scratch_init 0
		.amdhsa_user_sgpr_private_segment_size 0
		.amdhsa_wavefront_size32 1
		.amdhsa_uses_dynamic_stack 0
		.amdhsa_system_sgpr_private_segment_wavefront_offset 0
		.amdhsa_system_sgpr_workgroup_id_x 1
		.amdhsa_system_sgpr_workgroup_id_y 0
		.amdhsa_system_sgpr_workgroup_id_z 0
		.amdhsa_system_sgpr_workgroup_info 0
		.amdhsa_system_vgpr_workitem_id 0
		.amdhsa_next_free_vgpr 144
		.amdhsa_next_free_sgpr 36
		.amdhsa_reserve_vcc 1
		.amdhsa_reserve_flat_scratch 0
		.amdhsa_float_round_mode_32 0
		.amdhsa_float_round_mode_16_64 0
		.amdhsa_float_denorm_mode_32 3
		.amdhsa_float_denorm_mode_16_64 3
		.amdhsa_dx10_clamp 1
		.amdhsa_ieee_mode 1
		.amdhsa_fp16_overflow 0
		.amdhsa_workgroup_processor_mode 1
		.amdhsa_memory_ordered 1
		.amdhsa_forward_progress 0
		.amdhsa_shared_vgpr_count 0
		.amdhsa_exception_fp_ieee_invalid_op 0
		.amdhsa_exception_fp_denorm_src 0
		.amdhsa_exception_fp_ieee_div_zero 0
		.amdhsa_exception_fp_ieee_overflow 0
		.amdhsa_exception_fp_ieee_underflow 0
		.amdhsa_exception_fp_ieee_inexact 0
		.amdhsa_exception_int_div_zero 0
	.end_amdhsa_kernel
	.text
.Lfunc_end0:
	.size	fft_rtc_fwd_len891_factors_9_11_3_3_wgs_198_tpt_99_halfLds_dp_ip_CI_sbrr_dirReg, .Lfunc_end0-fft_rtc_fwd_len891_factors_9_11_3_3_wgs_198_tpt_99_halfLds_dp_ip_CI_sbrr_dirReg
                                        ; -- End function
	.section	.AMDGPU.csdata,"",@progbits
; Kernel info:
; codeLenInByte = 9048
; NumSgprs: 38
; NumVgprs: 144
; ScratchSize: 0
; MemoryBound: 1
; FloatMode: 240
; IeeeMode: 1
; LDSByteSize: 0 bytes/workgroup (compile time only)
; SGPRBlocks: 4
; VGPRBlocks: 17
; NumSGPRsForWavesPerEU: 38
; NumVGPRsForWavesPerEU: 144
; Occupancy: 7
; WaveLimiterHint : 1
; COMPUTE_PGM_RSRC2:SCRATCH_EN: 0
; COMPUTE_PGM_RSRC2:USER_SGPR: 6
; COMPUTE_PGM_RSRC2:TRAP_HANDLER: 0
; COMPUTE_PGM_RSRC2:TGID_X_EN: 1
; COMPUTE_PGM_RSRC2:TGID_Y_EN: 0
; COMPUTE_PGM_RSRC2:TGID_Z_EN: 0
; COMPUTE_PGM_RSRC2:TIDIG_COMP_CNT: 0
	.text
	.p2alignl 6, 3214868480
	.fill 48, 4, 3214868480
	.type	__hip_cuid_5621e1f24dec46c1,@object ; @__hip_cuid_5621e1f24dec46c1
	.section	.bss,"aw",@nobits
	.globl	__hip_cuid_5621e1f24dec46c1
__hip_cuid_5621e1f24dec46c1:
	.byte	0                               ; 0x0
	.size	__hip_cuid_5621e1f24dec46c1, 1

	.ident	"AMD clang version 19.0.0git (https://github.com/RadeonOpenCompute/llvm-project roc-6.4.0 25133 c7fe45cf4b819c5991fe208aaa96edf142730f1d)"
	.section	".note.GNU-stack","",@progbits
	.addrsig
	.addrsig_sym __hip_cuid_5621e1f24dec46c1
	.amdgpu_metadata
---
amdhsa.kernels:
  - .args:
      - .actual_access:  read_only
        .address_space:  global
        .offset:         0
        .size:           8
        .value_kind:     global_buffer
      - .offset:         8
        .size:           8
        .value_kind:     by_value
      - .actual_access:  read_only
        .address_space:  global
        .offset:         16
        .size:           8
        .value_kind:     global_buffer
      - .actual_access:  read_only
        .address_space:  global
        .offset:         24
        .size:           8
        .value_kind:     global_buffer
      - .offset:         32
        .size:           8
        .value_kind:     by_value
      - .actual_access:  read_only
        .address_space:  global
        .offset:         40
        .size:           8
        .value_kind:     global_buffer
      - .actual_access:  read_only
        .address_space:  global
        .offset:         48
        .size:           8
        .value_kind:     global_buffer
      - .offset:         56
        .size:           4
        .value_kind:     by_value
      - .actual_access:  read_only
        .address_space:  global
        .offset:         64
        .size:           8
        .value_kind:     global_buffer
      - .actual_access:  read_only
        .address_space:  global
        .offset:         72
        .size:           8
        .value_kind:     global_buffer
      - .address_space:  global
        .offset:         80
        .size:           8
        .value_kind:     global_buffer
    .group_segment_fixed_size: 0
    .kernarg_segment_align: 8
    .kernarg_segment_size: 88
    .language:       OpenCL C
    .language_version:
      - 2
      - 0
    .max_flat_workgroup_size: 198
    .name:           fft_rtc_fwd_len891_factors_9_11_3_3_wgs_198_tpt_99_halfLds_dp_ip_CI_sbrr_dirReg
    .private_segment_fixed_size: 0
    .sgpr_count:     38
    .sgpr_spill_count: 0
    .symbol:         fft_rtc_fwd_len891_factors_9_11_3_3_wgs_198_tpt_99_halfLds_dp_ip_CI_sbrr_dirReg.kd
    .uniform_work_group_size: 1
    .uses_dynamic_stack: false
    .vgpr_count:     144
    .vgpr_spill_count: 0
    .wavefront_size: 32
    .workgroup_processor_mode: 1
amdhsa.target:   amdgcn-amd-amdhsa--gfx1030
amdhsa.version:
  - 1
  - 2
...

	.end_amdgpu_metadata
